;; amdgpu-corpus repo=ROCm/rocm-libraries kind=compiled arch=gfx1250 opt=O3
	.amdgcn_target "amdgcn-amd-amdhsa--gfx1250"
	.amdhsa_code_object_version 6
	.text
	.protected	MIOpenBatchNormFwdTrainPerActivation ; -- Begin function MIOpenBatchNormFwdTrainPerActivation
	.globl	MIOpenBatchNormFwdTrainPerActivation
	.p2align	8
	.type	MIOpenBatchNormFwdTrainPerActivation,@function
MIOpenBatchNormFwdTrainPerActivation:   ; @MIOpenBatchNormFwdTrainPerActivation
; %bb.0:
	s_load_b32 s10, s[0:1], 0xc
	s_bfe_u32 s2, ttmp6, 0x40010
	s_bfe_u32 s4, ttmp6, 0x40004
	s_add_co_i32 s2, s2, 1
	s_delay_alu instid0(SALU_CYCLE_1)
	s_mul_i32 s3, ttmp7, s2
	s_getreg_b32 s2, hwreg(HW_REG_IB_STS2, 6, 4)
	s_add_co_i32 s4, s4, s3
	s_cmp_eq_u32 s2, 0
	s_cselect_b32 s11, ttmp7, s4
	s_wait_kmcnt 0x0
	s_cmp_ge_u32 s11, s10
	s_cbranch_scc1 .LBB0_5
; %bb.1:
	s_clause 0x1
	s_load_b256 s[12:19], s[0:1], 0x10
	s_load_b64 s[6:7], s[0:1], 0x0
	s_bfe_u32 s3, ttmp6, 0x4000c
	s_and_b32 s4, ttmp6, 15
	s_add_co_i32 s3, s3, 1
	s_wait_xcnt 0x0
	s_add_nc_u64 s[0:1], s[0:1], 48
	s_mul_i32 s3, ttmp9, s3
	s_delay_alu instid0(SALU_CYCLE_1) | instskip(SKIP_2) | instid1(SALU_CYCLE_1)
	s_add_co_i32 s4, s4, s3
	s_cmp_eq_u32 s2, 0
	s_cselect_b32 s2, ttmp9, s4
	s_ashr_i32 s3, s2, 31
	s_delay_alu instid0(SALU_CYCLE_1)
	s_lshl_b64 s[8:9], s[2:3], 2
	s_wait_kmcnt 0x0
	v_cvt_f32_f64_e32 v0, s[18:19]
	s_add_nc_u64 s[2:3], s[14:15], s[8:9]
	s_add_nc_u64 s[4:5], s[16:17], s[8:9]
	;; [unrolled: 1-line block ×4, first 2 shown]
	s_branch .LBB0_3
.LBB0_2:                                ;   in Loop: Header=BB0_3 Depth=1
	s_and_not1_b32 vcc_lo, exec_lo, s12
	s_cbranch_vccz .LBB0_5
.LBB0_3:                                ; =>This Inner Loop Header: Depth=1
	s_cmp_ge_u32 s11, s10
	s_mov_b32 s12, -1
	s_cbranch_scc1 .LBB0_2
; %bb.4:                                ;   in Loop: Header=BB0_3 Depth=1
	s_load_b32 s12, s[6:7], s11 offset:0x0 scale_offset
	s_wait_kmcnt 0x0
	s_add_f32 s13, s12, 0
	s_delay_alu instid0(SALU_CYCLE_3) | instskip(SKIP_3) | instid1(VALU_DEP_1)
	s_sub_f32 s12, s12, s13
	s_load_b32 s13, s[2:3], s11 offset:0x0 scale_offset
	s_load_b32 s14, s[4:5], s11 offset:0x0 scale_offset
	s_load_b32 s15, s[0:1], 0x4
	v_fma_f32 v1, s12, s12, v0
	s_delay_alu instid0(VALU_DEP_1) | instskip(NEXT) | instid1(VALU_DEP_1)
	v_cvt_f64_f32_e32 v[2:3], v1
	v_rsq_f64_e32 v[4:5], v[2:3]
	v_nop
	s_delay_alu instid0(TRANS32_DEP_1) | instskip(SKIP_1) | instid1(VALU_DEP_2)
	v_mul_f64_e64 v[2:3], v[4:5], -v[2:3]
	v_cmp_class_f64_e64 vcc_lo, v[4:5], 0x180
	v_fma_f64 v[2:3], v[2:3], v[4:5], 1.0
	s_delay_alu instid0(VALU_DEP_1) | instskip(SKIP_1) | instid1(VALU_DEP_1)
	v_mul_f64_e32 v[6:7], v[4:5], v[2:3]
	v_fma_f64 v[2:3], 0x3fd80000, v[2:3], 0.5
	v_fma_f64 v[2:3], v[6:7], v[2:3], v[4:5]
	s_delay_alu instid0(VALU_DEP_1) | instskip(NEXT) | instid1(VALU_DEP_1)
	v_dual_cndmask_b32 v3, v5, v3 :: v_dual_cndmask_b32 v2, v4, v2
	v_cvt_f32_f64_e32 v1, v[2:3]
	v_mov_b32_e32 v2, s11
	s_wait_kmcnt 0x0
	s_wait_xcnt 0x0
	s_add_co_i32 s11, s15, s11
	s_delay_alu instid0(SALU_CYCLE_1) | instskip(NEXT) | instid1(VALU_DEP_2)
	s_cmp_ge_u32 s11, s10
	v_mul_f32_e32 v1, s12, v1
	s_cselect_b32 s12, -1, 0
	s_delay_alu instid0(VALU_DEP_1)
	v_fma_f32 v1, s13, v1, s14
	global_store_b32 v2, v1, s[8:9] scale_offset
	s_branch .LBB0_2
.LBB0_5:
	s_endpgm
	.section	.rodata,"a",@progbits
	.p2align	6, 0x0
	.amdhsa_kernel MIOpenBatchNormFwdTrainPerActivation
		.amdhsa_group_segment_fixed_size 0
		.amdhsa_private_segment_fixed_size 0
		.amdhsa_kernarg_size 304
		.amdhsa_user_sgpr_count 2
		.amdhsa_user_sgpr_dispatch_ptr 0
		.amdhsa_user_sgpr_queue_ptr 0
		.amdhsa_user_sgpr_kernarg_segment_ptr 1
		.amdhsa_user_sgpr_dispatch_id 0
		.amdhsa_user_sgpr_kernarg_preload_length 0
		.amdhsa_user_sgpr_kernarg_preload_offset 0
		.amdhsa_user_sgpr_private_segment_size 0
		.amdhsa_wavefront_size32 1
		.amdhsa_uses_dynamic_stack 0
		.amdhsa_enable_private_segment 0
		.amdhsa_system_sgpr_workgroup_id_x 1
		.amdhsa_system_sgpr_workgroup_id_y 1
		.amdhsa_system_sgpr_workgroup_id_z 0
		.amdhsa_system_sgpr_workgroup_info 0
		.amdhsa_system_vgpr_workitem_id 0
		.amdhsa_next_free_vgpr 8
		.amdhsa_next_free_sgpr 20
		.amdhsa_named_barrier_count 0
		.amdhsa_reserve_vcc 1
		.amdhsa_float_round_mode_32 0
		.amdhsa_float_round_mode_16_64 0
		.amdhsa_float_denorm_mode_32 3
		.amdhsa_float_denorm_mode_16_64 3
		.amdhsa_fp16_overflow 0
		.amdhsa_memory_ordered 1
		.amdhsa_forward_progress 1
		.amdhsa_inst_pref_size 4
		.amdhsa_round_robin_scheduling 0
		.amdhsa_exception_fp_ieee_invalid_op 0
		.amdhsa_exception_fp_denorm_src 0
		.amdhsa_exception_fp_ieee_div_zero 0
		.amdhsa_exception_fp_ieee_overflow 0
		.amdhsa_exception_fp_ieee_underflow 0
		.amdhsa_exception_fp_ieee_inexact 0
		.amdhsa_exception_int_div_zero 0
	.end_amdhsa_kernel
	.text
.Lfunc_end0:
	.size	MIOpenBatchNormFwdTrainPerActivation, .Lfunc_end0-MIOpenBatchNormFwdTrainPerActivation
                                        ; -- End function
	.set MIOpenBatchNormFwdTrainPerActivation.num_vgpr, 8
	.set MIOpenBatchNormFwdTrainPerActivation.num_agpr, 0
	.set MIOpenBatchNormFwdTrainPerActivation.numbered_sgpr, 20
	.set MIOpenBatchNormFwdTrainPerActivation.num_named_barrier, 0
	.set MIOpenBatchNormFwdTrainPerActivation.private_seg_size, 0
	.set MIOpenBatchNormFwdTrainPerActivation.uses_vcc, 1
	.set MIOpenBatchNormFwdTrainPerActivation.uses_flat_scratch, 0
	.set MIOpenBatchNormFwdTrainPerActivation.has_dyn_sized_stack, 0
	.set MIOpenBatchNormFwdTrainPerActivation.has_recursion, 0
	.set MIOpenBatchNormFwdTrainPerActivation.has_indirect_call, 0
	.section	.AMDGPU.csdata,"",@progbits
; Kernel info:
; codeLenInByte = 400
; TotalNumSgprs: 22
; NumVgprs: 8
; ScratchSize: 0
; MemoryBound: 0
; FloatMode: 240
; IeeeMode: 1
; LDSByteSize: 0 bytes/workgroup (compile time only)
; SGPRBlocks: 0
; VGPRBlocks: 0
; NumSGPRsForWavesPerEU: 22
; NumVGPRsForWavesPerEU: 8
; NamedBarCnt: 0
; Occupancy: 16
; WaveLimiterHint : 0
; COMPUTE_PGM_RSRC2:SCRATCH_EN: 0
; COMPUTE_PGM_RSRC2:USER_SGPR: 2
; COMPUTE_PGM_RSRC2:TRAP_HANDLER: 0
; COMPUTE_PGM_RSRC2:TGID_X_EN: 1
; COMPUTE_PGM_RSRC2:TGID_Y_EN: 1
; COMPUTE_PGM_RSRC2:TGID_Z_EN: 0
; COMPUTE_PGM_RSRC2:TIDIG_COMP_CNT: 0
	.text
	.p2alignl 7, 3214868480
	.fill 96, 4, 3214868480
	.section	.AMDGPU.gpr_maximums,"",@progbits
	.set amdgpu.max_num_vgpr, 0
	.set amdgpu.max_num_agpr, 0
	.set amdgpu.max_num_sgpr, 0
	.text
	.type	__hip_cuid_bb22f933ce705c29,@object ; @__hip_cuid_bb22f933ce705c29
	.section	.bss,"aw",@nobits
	.globl	__hip_cuid_bb22f933ce705c29
__hip_cuid_bb22f933ce705c29:
	.byte	0                               ; 0x0
	.size	__hip_cuid_bb22f933ce705c29, 1

	.ident	"AMD clang version 22.0.0git (https://github.com/RadeonOpenCompute/llvm-project roc-7.2.4 26084 f58b06dce1f9c15707c5f808fd002e18c2accf7e)"
	.section	".note.GNU-stack","",@progbits
	.addrsig
	.addrsig_sym __hip_cuid_bb22f933ce705c29
	.amdgpu_metadata
---
amdhsa.kernels:
  - .args:
      - .actual_access:  read_only
        .address_space:  global
        .offset:         0
        .size:           8
        .value_kind:     global_buffer
      - .offset:         8
        .size:           4
        .value_kind:     by_value
      - .offset:         12
        .size:           4
        .value_kind:     by_value
      - .actual_access:  write_only
        .address_space:  global
        .offset:         16
        .size:           8
        .value_kind:     global_buffer
      - .actual_access:  read_only
        .address_space:  global
        .offset:         24
        .size:           8
        .value_kind:     global_buffer
      - .actual_access:  read_only
        .address_space:  global
        .offset:         32
        .size:           8
        .value_kind:     global_buffer
      - .offset:         40
        .size:           8
        .value_kind:     by_value
      - .offset:         48
        .size:           4
        .value_kind:     hidden_block_count_x
      - .offset:         52
        .size:           4
        .value_kind:     hidden_block_count_y
      - .offset:         56
        .size:           4
        .value_kind:     hidden_block_count_z
      - .offset:         60
        .size:           2
        .value_kind:     hidden_group_size_x
      - .offset:         62
        .size:           2
        .value_kind:     hidden_group_size_y
      - .offset:         64
        .size:           2
        .value_kind:     hidden_group_size_z
      - .offset:         66
        .size:           2
        .value_kind:     hidden_remainder_x
      - .offset:         68
        .size:           2
        .value_kind:     hidden_remainder_y
      - .offset:         70
        .size:           2
        .value_kind:     hidden_remainder_z
      - .offset:         88
        .size:           8
        .value_kind:     hidden_global_offset_x
      - .offset:         96
        .size:           8
        .value_kind:     hidden_global_offset_y
      - .offset:         104
        .size:           8
        .value_kind:     hidden_global_offset_z
      - .offset:         112
        .size:           2
        .value_kind:     hidden_grid_dims
    .group_segment_fixed_size: 0
    .kernarg_segment_align: 8
    .kernarg_segment_size: 304
    .language:       OpenCL C
    .language_version:
      - 2
      - 0
    .max_flat_workgroup_size: 1
    .name:           MIOpenBatchNormFwdTrainPerActivation
    .private_segment_fixed_size: 0
    .sgpr_count:     22
    .sgpr_spill_count: 0
    .symbol:         MIOpenBatchNormFwdTrainPerActivation.kd
    .uniform_work_group_size: 1
    .uses_dynamic_stack: false
    .vgpr_count:     8
    .vgpr_spill_count: 0
    .wavefront_size: 32
amdhsa.target:   amdgcn-amd-amdhsa--gfx1250
amdhsa.version:
  - 1
  - 2
...

	.end_amdgpu_metadata
